;; amdgpu-corpus repo=ROCm/rocFFT kind=compiled arch=gfx906 opt=O3
	.text
	.amdgcn_target "amdgcn-amd-amdhsa--gfx906"
	.amdhsa_code_object_version 6
	.protected	fft_rtc_back_len490_factors_10_7_7_wgs_210_tpt_70_half_ip_CI_unitstride_sbrr_dirReg ; -- Begin function fft_rtc_back_len490_factors_10_7_7_wgs_210_tpt_70_half_ip_CI_unitstride_sbrr_dirReg
	.globl	fft_rtc_back_len490_factors_10_7_7_wgs_210_tpt_70_half_ip_CI_unitstride_sbrr_dirReg
	.p2align	8
	.type	fft_rtc_back_len490_factors_10_7_7_wgs_210_tpt_70_half_ip_CI_unitstride_sbrr_dirReg,@function
fft_rtc_back_len490_factors_10_7_7_wgs_210_tpt_70_half_ip_CI_unitstride_sbrr_dirReg: ; @fft_rtc_back_len490_factors_10_7_7_wgs_210_tpt_70_half_ip_CI_unitstride_sbrr_dirReg
; %bb.0:
	v_mul_u32_u24_e32 v1, 0x3a9, v0
	s_load_dwordx2 s[2:3], s[4:5], 0x50
	s_load_dwordx4 s[8:11], s[4:5], 0x0
	s_load_dwordx2 s[12:13], s[4:5], 0x18
	v_lshrrev_b32_e32 v1, 16, v1
	v_mad_u64_u32 v[6:7], s[0:1], s6, 3, v[1:2]
	v_mov_b32_e32 v3, 0
	s_waitcnt lgkmcnt(0)
	v_cmp_lt_u64_e64 s[0:1], s[10:11], 2
	v_mov_b32_e32 v7, v3
	v_mov_b32_e32 v1, 0
	;; [unrolled: 1-line block ×3, first 2 shown]
	s_and_b64 vcc, exec, s[0:1]
	v_mov_b32_e32 v2, 0
	v_mov_b32_e32 v5, v7
	s_cbranch_vccnz .LBB0_8
; %bb.1:
	s_load_dwordx2 s[0:1], s[4:5], 0x10
	s_add_u32 s6, s12, 8
	s_addc_u32 s7, s13, 0
	v_mov_b32_e32 v1, 0
	v_mov_b32_e32 v8, v7
	s_waitcnt lgkmcnt(0)
	s_add_u32 s16, s0, 8
	s_mov_b64 s[14:15], 1
	v_mov_b32_e32 v2, 0
	s_addc_u32 s17, s1, 0
	v_mov_b32_e32 v7, v6
.LBB0_2:                                ; =>This Inner Loop Header: Depth=1
	s_load_dwordx2 s[18:19], s[16:17], 0x0
	s_waitcnt lgkmcnt(0)
	v_or_b32_e32 v4, s19, v8
	v_cmp_ne_u64_e32 vcc, 0, v[3:4]
                                        ; implicit-def: $vgpr4_vgpr5
	s_and_saveexec_b64 s[0:1], vcc
	s_xor_b64 s[20:21], exec, s[0:1]
	s_cbranch_execz .LBB0_4
; %bb.3:                                ;   in Loop: Header=BB0_2 Depth=1
	v_cvt_f32_u32_e32 v4, s18
	v_cvt_f32_u32_e32 v5, s19
	s_sub_u32 s0, 0, s18
	s_subb_u32 s1, 0, s19
	v_mac_f32_e32 v4, 0x4f800000, v5
	v_rcp_f32_e32 v4, v4
	v_mul_f32_e32 v4, 0x5f7ffffc, v4
	v_mul_f32_e32 v5, 0x2f800000, v4
	v_trunc_f32_e32 v5, v5
	v_mac_f32_e32 v4, 0xcf800000, v5
	v_cvt_u32_f32_e32 v5, v5
	v_cvt_u32_f32_e32 v4, v4
	v_mul_lo_u32 v9, s0, v5
	v_mul_hi_u32 v10, s0, v4
	v_mul_lo_u32 v12, s1, v4
	v_mul_lo_u32 v11, s0, v4
	v_add_u32_e32 v9, v10, v9
	v_add_u32_e32 v9, v9, v12
	v_mul_hi_u32 v10, v4, v11
	v_mul_lo_u32 v12, v4, v9
	v_mul_hi_u32 v14, v4, v9
	v_mul_hi_u32 v13, v5, v11
	v_mul_lo_u32 v11, v5, v11
	v_mul_hi_u32 v15, v5, v9
	v_add_co_u32_e32 v10, vcc, v10, v12
	v_addc_co_u32_e32 v12, vcc, 0, v14, vcc
	v_mul_lo_u32 v9, v5, v9
	v_add_co_u32_e32 v10, vcc, v10, v11
	v_addc_co_u32_e32 v10, vcc, v12, v13, vcc
	v_addc_co_u32_e32 v11, vcc, 0, v15, vcc
	v_add_co_u32_e32 v9, vcc, v10, v9
	v_addc_co_u32_e32 v10, vcc, 0, v11, vcc
	v_add_co_u32_e32 v4, vcc, v4, v9
	v_addc_co_u32_e32 v5, vcc, v5, v10, vcc
	v_mul_lo_u32 v9, s0, v5
	v_mul_hi_u32 v10, s0, v4
	v_mul_lo_u32 v11, s1, v4
	v_mul_lo_u32 v12, s0, v4
	v_add_u32_e32 v9, v10, v9
	v_add_u32_e32 v9, v9, v11
	v_mul_lo_u32 v13, v4, v9
	v_mul_hi_u32 v14, v4, v12
	v_mul_hi_u32 v15, v4, v9
	;; [unrolled: 1-line block ×3, first 2 shown]
	v_mul_lo_u32 v12, v5, v12
	v_mul_hi_u32 v10, v5, v9
	v_add_co_u32_e32 v13, vcc, v14, v13
	v_addc_co_u32_e32 v14, vcc, 0, v15, vcc
	v_mul_lo_u32 v9, v5, v9
	v_add_co_u32_e32 v12, vcc, v13, v12
	v_addc_co_u32_e32 v11, vcc, v14, v11, vcc
	v_addc_co_u32_e32 v10, vcc, 0, v10, vcc
	v_add_co_u32_e32 v9, vcc, v11, v9
	v_addc_co_u32_e32 v10, vcc, 0, v10, vcc
	v_add_co_u32_e32 v9, vcc, v4, v9
	v_addc_co_u32_e32 v10, vcc, v5, v10, vcc
	v_mad_u64_u32 v[4:5], s[0:1], v7, v10, 0
	v_mul_hi_u32 v11, v7, v9
	v_add_co_u32_e32 v11, vcc, v11, v4
	v_addc_co_u32_e32 v12, vcc, 0, v5, vcc
	v_mad_u64_u32 v[4:5], s[0:1], v8, v9, 0
	v_mad_u64_u32 v[9:10], s[0:1], v8, v10, 0
	v_add_co_u32_e32 v4, vcc, v11, v4
	v_addc_co_u32_e32 v4, vcc, v12, v5, vcc
	v_addc_co_u32_e32 v5, vcc, 0, v10, vcc
	v_add_co_u32_e32 v9, vcc, v4, v9
	v_addc_co_u32_e32 v10, vcc, 0, v5, vcc
	v_mul_lo_u32 v11, s19, v9
	v_mul_lo_u32 v12, s18, v10
	v_mad_u64_u32 v[4:5], s[0:1], s18, v9, 0
	v_add3_u32 v5, v5, v12, v11
	v_sub_u32_e32 v11, v8, v5
	v_mov_b32_e32 v12, s19
	v_sub_co_u32_e32 v4, vcc, v7, v4
	v_subb_co_u32_e64 v11, s[0:1], v11, v12, vcc
	v_subrev_co_u32_e64 v12, s[0:1], s18, v4
	v_subbrev_co_u32_e64 v11, s[0:1], 0, v11, s[0:1]
	v_cmp_le_u32_e64 s[0:1], s19, v11
	v_cndmask_b32_e64 v13, 0, -1, s[0:1]
	v_cmp_le_u32_e64 s[0:1], s18, v12
	v_cndmask_b32_e64 v12, 0, -1, s[0:1]
	v_cmp_eq_u32_e64 s[0:1], s19, v11
	v_cndmask_b32_e64 v11, v13, v12, s[0:1]
	v_add_co_u32_e64 v12, s[0:1], 2, v9
	v_addc_co_u32_e64 v13, s[0:1], 0, v10, s[0:1]
	v_add_co_u32_e64 v14, s[0:1], 1, v9
	v_addc_co_u32_e64 v15, s[0:1], 0, v10, s[0:1]
	v_subb_co_u32_e32 v5, vcc, v8, v5, vcc
	v_cmp_ne_u32_e64 s[0:1], 0, v11
	v_cmp_le_u32_e32 vcc, s19, v5
	v_cndmask_b32_e64 v11, v15, v13, s[0:1]
	v_cndmask_b32_e64 v13, 0, -1, vcc
	v_cmp_le_u32_e32 vcc, s18, v4
	v_cndmask_b32_e64 v4, 0, -1, vcc
	v_cmp_eq_u32_e32 vcc, s19, v5
	v_cndmask_b32_e32 v4, v13, v4, vcc
	v_cmp_ne_u32_e32 vcc, 0, v4
	v_cndmask_b32_e64 v4, v14, v12, s[0:1]
	v_cndmask_b32_e32 v5, v10, v11, vcc
	v_cndmask_b32_e32 v4, v9, v4, vcc
.LBB0_4:                                ;   in Loop: Header=BB0_2 Depth=1
	s_andn2_saveexec_b64 s[0:1], s[20:21]
	s_cbranch_execz .LBB0_6
; %bb.5:                                ;   in Loop: Header=BB0_2 Depth=1
	v_cvt_f32_u32_e32 v4, s18
	s_sub_i32 s20, 0, s18
	v_rcp_iflag_f32_e32 v4, v4
	v_mul_f32_e32 v4, 0x4f7ffffe, v4
	v_cvt_u32_f32_e32 v4, v4
	v_mul_lo_u32 v5, s20, v4
	v_mul_hi_u32 v5, v4, v5
	v_add_u32_e32 v4, v4, v5
	v_mul_hi_u32 v4, v7, v4
	v_mul_lo_u32 v5, v4, s18
	v_add_u32_e32 v9, 1, v4
	v_sub_u32_e32 v5, v7, v5
	v_subrev_u32_e32 v10, s18, v5
	v_cmp_le_u32_e32 vcc, s18, v5
	v_cndmask_b32_e32 v5, v5, v10, vcc
	v_cndmask_b32_e32 v4, v4, v9, vcc
	v_add_u32_e32 v9, 1, v4
	v_cmp_le_u32_e32 vcc, s18, v5
	v_cndmask_b32_e32 v4, v4, v9, vcc
	v_mov_b32_e32 v5, v3
.LBB0_6:                                ;   in Loop: Header=BB0_2 Depth=1
	s_or_b64 exec, exec, s[0:1]
	v_mul_lo_u32 v11, v5, s18
	v_mul_lo_u32 v12, v4, s19
	v_mad_u64_u32 v[9:10], s[0:1], v4, s18, 0
	s_load_dwordx2 s[0:1], s[6:7], 0x0
	s_add_u32 s14, s14, 1
	v_add3_u32 v10, v10, v12, v11
	v_sub_co_u32_e32 v7, vcc, v7, v9
	v_subb_co_u32_e32 v8, vcc, v8, v10, vcc
	s_waitcnt lgkmcnt(0)
	v_mul_lo_u32 v8, s0, v8
	v_mul_lo_u32 v9, s1, v7
	v_mad_u64_u32 v[1:2], s[0:1], s0, v7, v[1:2]
	s_addc_u32 s15, s15, 0
	s_add_u32 s6, s6, 8
	v_add3_u32 v2, v9, v2, v8
	v_mov_b32_e32 v7, s10
	v_mov_b32_e32 v8, s11
	s_addc_u32 s7, s7, 0
	v_cmp_ge_u64_e32 vcc, s[14:15], v[7:8]
	s_add_u32 s16, s16, 8
	s_addc_u32 s17, s17, 0
	s_cbranch_vccnz .LBB0_8
; %bb.7:                                ;   in Loop: Header=BB0_2 Depth=1
	v_mov_b32_e32 v8, v5
	v_mov_b32_e32 v7, v4
	s_branch .LBB0_2
.LBB0_8:
	s_lshl_b64 s[0:1], s[10:11], 3
	s_add_u32 s0, s12, s0
	s_addc_u32 s1, s13, s1
	s_load_dwordx2 s[6:7], s[0:1], 0x0
	s_load_dwordx2 s[10:11], s[4:5], 0x20
                                        ; implicit-def: $vgpr10
                                        ; implicit-def: $vgpr9
                                        ; implicit-def: $vgpr15
                                        ; implicit-def: $vgpr14
                                        ; implicit-def: $vgpr13
                                        ; implicit-def: $vgpr11
                                        ; implicit-def: $vgpr12
	s_waitcnt lgkmcnt(0)
	v_mad_u64_u32 v[1:2], s[0:1], s6, v4, v[1:2]
	s_mov_b32 s0, 0x3a83a84
	v_mul_lo_u32 v3, s6, v5
	v_mul_lo_u32 v7, s7, v4
	v_mul_hi_u32 v8, v0, s0
	v_cmp_gt_u64_e32 vcc, s[10:11], v[4:5]
                                        ; implicit-def: $vgpr5
	v_add3_u32 v2, v7, v2, v3
	v_mul_u32_u24_e32 v3, 0x46, v8
	v_sub_u32_e32 v4, v0, v3
	v_mov_b32_e32 v3, 0
                                        ; implicit-def: $vgpr8
                                        ; implicit-def: $vgpr7
	s_and_saveexec_b64 s[4:5], vcc
	s_cbranch_execz .LBB0_12
; %bb.9:
	v_cmp_gt_u32_e64 s[0:1], 49, v4
                                        ; implicit-def: $vgpr12
                                        ; implicit-def: $vgpr11
                                        ; implicit-def: $vgpr13
                                        ; implicit-def: $vgpr14
                                        ; implicit-def: $vgpr15
                                        ; implicit-def: $vgpr9
                                        ; implicit-def: $vgpr7
                                        ; implicit-def: $vgpr8
                                        ; implicit-def: $vgpr5
                                        ; implicit-def: $vgpr10
	s_and_saveexec_b64 s[6:7], s[0:1]
	s_cbranch_execz .LBB0_11
; %bb.10:
	v_lshlrev_b64 v[7:8], 2, v[1:2]
	v_mov_b32_e32 v5, 0
	v_mov_b32_e32 v0, s3
	v_add_co_u32_e64 v3, s[0:1], s2, v7
	v_addc_co_u32_e64 v0, s[0:1], v0, v8, s[0:1]
	v_lshlrev_b64 v[7:8], 2, v[4:5]
	v_add_co_u32_e64 v16, s[0:1], v3, v7
	v_addc_co_u32_e64 v17, s[0:1], v0, v8, s[0:1]
	global_load_dword v5, v[16:17], off
	global_load_dword v11, v[16:17], off offset:196
	global_load_dword v8, v[16:17], off offset:392
	;; [unrolled: 1-line block ×9, first 2 shown]
.LBB0_11:
	s_or_b64 exec, exec, s[6:7]
	v_mov_b32_e32 v3, v4
.LBB0_12:
	s_or_b64 exec, exec, s[4:5]
	s_mov_b32 s0, 0xaaaaaaab
	v_mul_hi_u32 v0, v6, s0
	v_cmp_gt_u32_e64 s[0:1], 49, v4
	v_lshrrev_b32_e32 v0, 1, v0
	v_lshl_add_u32 v0, v0, 1, v0
	v_sub_u32_e32 v0, v6, v0
	v_mul_u32_u24_e32 v0, 0x1ea, v0
	v_lshlrev_b32_e32 v0, 2, v0
	s_and_saveexec_b64 s[4:5], s[0:1]
	s_cbranch_execz .LBB0_14
; %bb.13:
	s_waitcnt vmcnt(5)
	v_pk_add_f16 v16, v7, v8 neg_lo:[0,1] neg_hi:[0,1]
	s_waitcnt vmcnt(1)
	v_pk_add_f16 v17, v9, v10 neg_lo:[0,1] neg_hi:[0,1]
	v_pk_add_f16 v16, v16, v17
	v_pk_add_f16 v17, v13, v12 neg_lo:[0,1] neg_hi:[0,1]
	s_waitcnt vmcnt(0)
	v_pk_add_f16 v18, v14, v15 neg_lo:[0,1] neg_hi:[0,1]
	s_movk_i32 s0, 0x3b9c
	v_pk_add_f16 v6, v13, v14 neg_lo:[0,1] neg_hi:[0,1]
	v_pk_add_f16 v17, v18, v17
	v_pk_add_f16 v18, v15, v12
	v_pk_fma_f16 v18, v18, 0.5, v11 op_sel_hi:[1,0,1] neg_lo:[1,0,0] neg_hi:[1,0,0]
	v_pk_mul_f16 v19, v6, s0 op_sel_hi:[1,0]
	v_pk_add_f16 v20, v18, v19 op_sel:[0,1] op_sel_hi:[1,0] neg_lo:[0,1] neg_hi:[0,1]
	v_pk_add_f16 v18, v19, v18 op_sel:[1,0] op_sel_hi:[0,1]
	s_movk_i32 s1, 0x38b4
	v_pk_add_f16 v19, v12, v15 neg_lo:[0,1] neg_hi:[0,1]
	v_pk_mul_f16 v21, v19, s1 op_sel_hi:[1,0]
	v_pk_add_f16 v20, v21, v20 op_sel:[1,0] op_sel_hi:[0,1]
	v_pk_add_f16 v18, v18, v21 op_sel:[0,1] op_sel_hi:[1,0] neg_lo:[0,1] neg_hi:[0,1]
	s_movk_i32 s6, 0x34f2
	v_pk_fma_f16 v20, v17, s6, v20 op_sel_hi:[1,0,1]
	v_pk_fma_f16 v17, v17, s6, v18 op_sel_hi:[1,0,1]
	v_pk_add_f16 v18, v8, v10
	v_pk_add_f16 v21, v7, v9 neg_lo:[0,1] neg_hi:[0,1]
	v_pk_fma_f16 v18, v18, 0.5, v5 op_sel_hi:[1,0,1] neg_lo:[1,0,0] neg_hi:[1,0,0]
	v_pk_mul_f16 v22, v21, s0 op_sel_hi:[1,0]
	v_pk_add_f16 v23, v18, v22 op_sel:[0,1] op_sel_hi:[1,0]
	v_pk_add_f16 v18, v18, v22 op_sel:[0,1] op_sel_hi:[1,0] neg_lo:[0,1] neg_hi:[0,1]
	v_pk_add_f16 v22, v8, v10 neg_lo:[0,1] neg_hi:[0,1]
	v_pk_mul_f16 v24, v22, s1 op_sel_hi:[1,0]
	v_pk_add_f16 v23, v23, v24 op_sel:[0,1] op_sel_hi:[1,0] neg_lo:[0,1] neg_hi:[0,1]
	v_pk_add_f16 v18, v24, v18 op_sel:[1,0] op_sel_hi:[0,1]
	s_mov_b32 s10, 0xb4f2
	v_pk_fma_f16 v23, v16, s6, v23 op_sel_hi:[1,0,1]
	v_pk_fma_f16 v16, v16, s6, v18 op_sel_hi:[1,0,1]
	s_mov_b32 s7, 0xbb9c
	v_mul_f16_sdwa v18, v17, s10 dst_sel:DWORD dst_unused:UNUSED_PAD src0_sel:WORD_1 src1_sel:DWORD
	s_mov_b32 s10, 0x34f2b4f2
	v_pk_mul_f16 v24, v17, s0 op_sel_hi:[1,0]
	v_fma_f16 v18, v20, s0, v18
	v_pk_fma_f16 v25, v20, s10, v24 op_sel:[0,0,1] op_sel_hi:[1,1,0]
	v_pk_fma_f16 v24, v20, s10, v24 op_sel:[0,0,1] op_sel_hi:[1,1,0] neg_lo:[0,0,1] neg_hi:[0,0,1]
	v_mul_f16_sdwa v20, v20, s7 dst_sel:DWORD dst_unused:UNUSED_PAD src0_sel:WORD_1 src1_sel:DWORD
	s_mov_b32 s10, 0xffff
	v_fma_f16 v17, v17, s6, v20
	v_bfi_b32 v20, s10, v24, v25
	v_pk_add_f16 v20, v16, v20
	v_add_f16_e32 v26, v23, v17
	v_add_f16_sdwa v27, v23, v18 dst_sel:DWORD dst_unused:UNUSED_PAD src0_sel:WORD_1 src1_sel:DWORD
	v_bfi_b32 v26, s10, v26, v20
	v_pack_b32_f16 v20, v20, v27
	v_mul_u32_u24_e32 v27, 10, v4
	v_lshlrev_b32_e32 v27, 2, v27
	v_add3_u32 v27, 0, v27, v0
	ds_write2_b32 v27, v26, v20 offset0:2 offset1:3
	v_pk_add_f16 v20, v12, v13 neg_lo:[0,1] neg_hi:[0,1]
	v_pk_add_f16 v26, v15, v14 neg_lo:[0,1] neg_hi:[0,1]
	v_pk_add_f16 v20, v26, v20
	v_add_f16_sdwa v26, v14, v13 dst_sel:DWORD dst_unused:UNUSED_PAD src0_sel:WORD_1 src1_sel:WORD_1
	v_lshrrev_b32_e32 v28, 16, v11
	v_fma_f16 v26, v26, -0.5, v28
	v_add_f16_e32 v28, v14, v13
	v_fma_f16 v28, v28, -0.5, v11
	v_pk_add_f16 v11, v11, v12
	v_pk_add_f16 v11, v13, v11
	;; [unrolled: 1-line block ×4, first 2 shown]
	s_mov_b32 s11, 0x38b434f2
	v_bfi_b32 v12, s10, v20, v6
	v_lshrrev_b32_e32 v13, 16, v19
	v_fma_f16 v15, v19, s0, v26
	v_pk_mul_f16 v12, v12, s11
	v_fma_f16 v14, v13, s7, v28
	v_fma_f16 v15, v6, s1, v15
	v_lshrrev_b32_e32 v20, 16, v20
	v_sub_f16_sdwa v14, v14, v12 dst_sel:DWORD dst_unused:UNUSED_PAD src0_sel:DWORD src1_sel:WORD_1
	v_fma_f16 v15, v20, s6, v15
	v_add_f16_e32 v14, v12, v14
	s_movk_i32 s11, 0x3a79
	v_mul_f16_e32 v29, 0x3a79, v15
	v_mul_f16_e32 v15, 0xb8b4, v15
	v_fma_f16 v29, v14, s1, v29
	v_fma_f16 v14, v14, s11, v15
	v_pk_add_f16 v15, v5, v8
	v_pk_add_f16 v15, v15, v7
	v_fma_f16 v13, v13, s0, v28
	v_pk_add_f16 v15, v15, v9
	v_pk_add_f16 v8, v8, v7 neg_lo:[0,1] neg_hi:[0,1]
	v_pk_add_f16 v7, v7, v9
	v_add_f16_sdwa v13, v12, v13 dst_sel:DWORD dst_unused:UNUSED_PAD src0_sel:WORD_1 src1_sel:DWORD
	v_pk_add_f16 v15, v10, v15
	v_pk_add_f16 v10, v10, v9 neg_lo:[0,1] neg_hi:[0,1]
	v_pk_fma_f16 v5, v7, 0.5, v5 op_sel_hi:[1,0,1] neg_lo:[1,0,0] neg_hi:[1,0,0]
	v_pk_mul_f16 v7, v22, s0 op_sel_hi:[1,0]
	v_add_f16_e32 v12, v12, v13
	v_fma_f16 v13, v19, s7, v26
	s_mov_b32 s0, 0xb8b4
	v_pk_add_f16 v8, v8, v10
	v_pk_add_f16 v9, v5, v7 op_sel:[0,1] op_sel_hi:[1,0]
	v_pk_add_f16 v5, v5, v7 op_sel:[0,1] op_sel_hi:[1,0] neg_lo:[0,1] neg_hi:[0,1]
	v_pk_mul_f16 v7, v21, s1 op_sel_hi:[1,0]
	v_fma_f16 v6, v6, s0, v13
	v_pk_add_f16 v9, v7, v9 op_sel:[1,0] op_sel_hi:[0,1]
	v_pk_add_f16 v5, v5, v7 op_sel:[0,1] op_sel_hi:[1,0] neg_lo:[0,1] neg_hi:[0,1]
	v_pk_mul_f16 v7, v8, s6 op_sel_hi:[1,0]
	v_fma_f16 v6, v20, s6, v6
	s_mov_b32 s1, 0xba79b8b4
	v_add_f16_sdwa v10, v7, v9 dst_sel:DWORD dst_unused:UNUSED_PAD src0_sel:WORD_1 src1_sel:WORD_1
	v_add_f16_e32 v7, v7, v5
	s_mov_b32 s0, 0x38b4ba79
	v_pk_mul_f16 v6, v6, s1 op_sel_hi:[0,1]
	v_bfi_b32 v5, s10, v9, v5
	v_add_f16_e32 v21, v10, v29
	v_add_f16_e32 v22, v7, v14
	v_pk_fma_f16 v6, v12, s0, v6 op_sel_hi:[0,1,1]
	v_pk_fma_f16 v5, v8, s6, v5 op_sel_hi:[1,0,1]
	v_pack_b32_f16 v21, v22, v21
	v_pk_add_f16 v22, v15, v11
	v_sub_f16_e32 v8, v10, v29
	v_pk_add_f16 v10, v5, v6 neg_lo:[0,1] neg_hi:[0,1]
	v_pk_add_f16 v11, v15, v11 neg_lo:[0,1] neg_hi:[0,1]
	v_pk_add_f16 v12, v5, v6
	v_alignbit_b32 v5, v5, v23, 16
	v_pack_b32_f16 v6, v18, v6
	v_pk_add_f16 v9, v16, v24 neg_lo:[0,1] neg_hi:[0,1]
	v_sub_f16_e32 v7, v7, v14
	ds_write2_b32 v27, v12, v11 offset0:4 offset1:5
	v_bfi_b32 v11, s10, v23, v16
	v_bfi_b32 v12, s10, v17, v25
	v_pk_add_f16 v5, v5, v6 neg_lo:[0,1] neg_hi:[0,1]
	s_mov_b32 s0, 0x7060302
	v_pk_add_f16 v11, v11, v12 neg_lo:[0,1] neg_hi:[0,1]
	v_pack_b32_f16 v7, v7, v8
	v_perm_b32 v6, v10, v5, s0
	v_pack_b32_f16 v5, v9, v5
	ds_write2_b32 v27, v22, v21 offset1:1
	ds_write2_b32 v27, v7, v11 offset0:6 offset1:7
	ds_write2_b32 v27, v5, v6 offset0:8 offset1:9
.LBB0_14:
	s_or_b64 exec, exec, s[4:5]
	s_movk_i32 s0, 0xcd
	s_waitcnt vmcnt(9)
	v_mul_lo_u16_sdwa v5, v4, s0 dst_sel:DWORD dst_unused:UNUSED_PAD src0_sel:BYTE_0 src1_sel:DWORD
	v_lshrrev_b16_e32 v19, 11, v5
	v_mul_lo_u16_e32 v5, 10, v19
	v_sub_u16_e32 v20, v4, v5
	v_mov_b32_e32 v5, 6
	v_mul_u32_u24_sdwa v5, v20, v5 dst_sel:DWORD dst_unused:UNUSED_PAD src0_sel:BYTE_0 src1_sel:DWORD
	v_lshlrev_b32_e32 v5, 2, v5
	s_waitcnt vmcnt(0) lgkmcnt(0)
	s_barrier
	global_load_dwordx4 v[9:12], v5, s[8:9]
	global_load_dwordx2 v[13:14], v5, s[8:9] offset:16
	v_lshlrev_b32_e32 v5, 2, v4
	v_add3_u32 v7, 0, v5, v0
	ds_read2_b32 v[15:16], v7 offset0:70 offset1:140
	v_add_u32_e32 v6, 0x200, v7
	ds_read2_b32 v[17:18], v6 offset0:82 offset1:152
	v_add_u32_e32 v8, 0x400, v7
	v_add3_u32 v5, 0, v0, v5
	s_waitcnt lgkmcnt(1)
	v_lshrrev_b32_e32 v21, 16, v15
	v_lshrrev_b32_e32 v22, 16, v16
	s_waitcnt lgkmcnt(0)
	v_lshrrev_b32_e32 v24, 16, v18
	v_lshrrev_b32_e32 v23, 16, v17
	s_movk_i32 s6, 0x2b26
	s_movk_i32 s0, 0x39e0
	s_mov_b32 s5, 0xb9e0
	s_mov_b32 s4, 0xbb00
	;; [unrolled: 1-line block ×3, first 2 shown]
	s_movk_i32 s7, 0x3574
	s_mov_b32 s11, 0xbcab
	s_movk_i32 s12, 0x118
	s_movk_i32 s1, 0x3a52
	s_waitcnt vmcnt(1)
	v_mul_f16_sdwa v25, v9, v21 dst_sel:DWORD dst_unused:UNUSED_PAD src0_sel:WORD_1 src1_sel:DWORD
	v_mul_f16_sdwa v26, v9, v15 dst_sel:DWORD dst_unused:UNUSED_PAD src0_sel:WORD_1 src1_sel:DWORD
	;; [unrolled: 1-line block ×3, first 2 shown]
	v_fma_f16 v25, v9, v15, v25
	v_mul_f16_sdwa v15, v12, v24 dst_sel:DWORD dst_unused:UNUSED_PAD src0_sel:WORD_1 src1_sel:DWORD
	v_mul_f16_sdwa v28, v10, v16 dst_sel:DWORD dst_unused:UNUSED_PAD src0_sel:WORD_1 src1_sel:DWORD
	v_fma_f16 v27, v10, v16, v27
	v_fma_f16 v9, v9, v21, -v26
	v_mul_f16_sdwa v21, v12, v18 dst_sel:DWORD dst_unused:UNUSED_PAD src0_sel:WORD_1 src1_sel:DWORD
	v_fma_f16 v18, v12, v18, v15
	ds_read2_b32 v[15:16], v8 offset0:94 offset1:164
	v_mul_f16_sdwa v29, v11, v23 dst_sel:DWORD dst_unused:UNUSED_PAD src0_sel:WORD_1 src1_sel:DWORD
	v_mul_f16_sdwa v30, v11, v17 dst_sel:DWORD dst_unused:UNUSED_PAD src0_sel:WORD_1 src1_sel:DWORD
	v_fma_f16 v17, v11, v17, v29
	v_fma_f16 v11, v11, v23, -v30
	s_waitcnt lgkmcnt(0)
	v_lshrrev_b32_e32 v23, 16, v15
	v_fma_f16 v12, v12, v24, -v21
	v_lshrrev_b32_e32 v21, 16, v16
	v_fma_f16 v10, v10, v22, -v28
	s_waitcnt vmcnt(0)
	v_mul_f16_sdwa v24, v13, v23 dst_sel:DWORD dst_unused:UNUSED_PAD src0_sel:WORD_1 src1_sel:DWORD
	v_mul_f16_sdwa v26, v13, v15 dst_sel:DWORD dst_unused:UNUSED_PAD src0_sel:WORD_1 src1_sel:DWORD
	;; [unrolled: 1-line block ×4, first 2 shown]
	v_fma_f16 v15, v13, v15, v24
	v_fma_f16 v13, v13, v23, -v26
	v_fma_f16 v16, v14, v16, v28
	v_fma_f16 v14, v14, v21, -v29
	ds_read_b32 v22, v5
	v_add_f16_e32 v21, v25, v16
	v_add_f16_e32 v23, v9, v14
	v_sub_f16_e32 v9, v9, v14
	v_add_f16_e32 v14, v27, v15
	v_add_f16_e32 v24, v10, v13
	v_sub_f16_e32 v15, v27, v15
	v_sub_f16_e32 v10, v10, v13
	v_add_f16_e32 v13, v17, v18
	v_sub_f16_e32 v17, v18, v17
	v_sub_f16_e32 v16, v25, v16
	v_add_f16_e32 v25, v11, v12
	v_sub_f16_e32 v11, v12, v11
	v_add_f16_e32 v12, v14, v21
	v_sub_f16_e32 v26, v14, v21
	v_sub_f16_e32 v21, v21, v13
	;; [unrolled: 1-line block ×3, first 2 shown]
	v_add_f16_e32 v28, v17, v15
	v_add_f16_e32 v18, v24, v23
	v_sub_f16_e32 v27, v24, v23
	v_sub_f16_e32 v23, v23, v25
	;; [unrolled: 1-line block ×3, first 2 shown]
	v_add_f16_e32 v12, v13, v12
	v_sub_f16_e32 v13, v17, v15
	v_sub_f16_e32 v17, v16, v17
	;; [unrolled: 1-line block ×3, first 2 shown]
	v_add_f16_e32 v16, v28, v16
	v_mul_f16_e32 v21, 0x3a52, v21
	v_mul_f16_e32 v28, 0x2b26, v14
	;; [unrolled: 1-line block ×3, first 2 shown]
	v_fma_f16 v14, v14, s6, v21
	v_fma_f16 v28, v26, s0, -v28
	v_fma_f16 v21, v26, s5, -v21
	v_mul_f16_e32 v26, 0x2b26, v24
	v_add_f16_e32 v29, v11, v10
	v_add_f16_e32 v18, v25, v18
	v_sub_f16_e32 v25, v11, v10
	v_sub_f16_e32 v10, v10, v9
	v_mul_f16_e32 v13, 0x3846, v13
	v_fma_f16 v24, v24, s6, v23
	v_fma_f16 v26, v27, s0, -v26
	v_fma_f16 v23, v27, s5, -v23
	v_mul_f16_e32 v27, 0xbb00, v15
	v_sub_f16_e32 v11, v9, v11
	v_add_f16_e32 v9, v29, v9
	s_waitcnt lgkmcnt(0)
	v_add_f16_e32 v29, v12, v22
	v_add_f16_sdwa v22, v18, v22 dst_sel:DWORD dst_unused:UNUSED_PAD src0_sel:DWORD src1_sel:WORD_1
	v_mul_f16_e32 v25, 0x3846, v25
	v_fma_f16 v15, v15, s4, -v13
	v_fma_f16 v13, v17, s10, v13
	v_fma_f16 v17, v17, s7, -v27
	v_mul_f16_e32 v27, 0xbb00, v10
	v_fma_f16 v12, v12, s11, v29
	v_fma_f16 v18, v18, s11, v22
	v_fma_f16 v10, v10, s4, -v25
	v_fma_f16 v25, v11, s10, v25
	v_fma_f16 v11, v11, s7, -v27
	s_mov_b32 s6, 0xb70e
	v_add_f16_e32 v14, v14, v12
	v_add_f16_e32 v24, v24, v18
	;; [unrolled: 1-line block ×6, first 2 shown]
	v_fma_f16 v13, v16, s6, v13
	v_fma_f16 v21, v9, s6, v25
	;; [unrolled: 1-line block ×6, first 2 shown]
	v_add_f16_e32 v23, v9, v12
	v_sub_f16_e32 v25, v18, v16
	v_sub_f16_e32 v9, v12, v9
	v_add_f16_e32 v12, v16, v18
	v_mov_b32_e32 v18, 2
	v_add_f16_e32 v11, v21, v14
	v_sub_f16_e32 v17, v24, v13
	v_sub_f16_e32 v28, v27, v10
	v_add_f16_e32 v10, v10, v27
	v_add_f16_e32 v27, v15, v26
	v_sub_f16_e32 v15, v26, v15
	v_mad_u32_u24 v16, v19, s12, 0
	v_lshlrev_b32_sdwa v18, v18, v20 dst_sel:DWORD dst_unused:UNUSED_PAD src0_sel:DWORD src1_sel:BYTE_0
	v_sub_f16_e32 v14, v14, v21
	v_add_f16_e32 v13, v13, v24
	v_add3_u32 v0, v16, v18, v0
	v_pack_b32_f16 v16, v29, v22
	v_pack_b32_f16 v11, v11, v17
	;; [unrolled: 1-line block ×4, first 2 shown]
	s_barrier
	ds_write2_b32 v0, v16, v11 offset1:10
	v_pack_b32_f16 v11, v23, v25
	v_pack_b32_f16 v16, v28, v27
	ds_write2_b32 v0, v10, v9 offset0:40 offset1:50
	v_pack_b32_f16 v9, v14, v13
	ds_write2_b32 v0, v11, v16 offset0:20 offset1:30
	ds_write_b32 v0, v9 offset:240
	s_waitcnt lgkmcnt(0)
	s_barrier
	s_and_saveexec_b64 s[12:13], vcc
	s_cbranch_execz .LBB0_16
; %bb.15:
	v_mul_u32_u24_e32 v0, 6, v4
	v_lshlrev_b32_e32 v0, 2, v0
	global_load_dwordx2 v[13:14], v0, s[8:9] offset:256
	global_load_dwordx4 v[9:12], v0, s[8:9] offset:240
	ds_read2_b32 v[15:16], v7 offset0:70 offset1:140
	ds_read2_b32 v[7:8], v8 offset0:94 offset1:164
	;; [unrolled: 1-line block ×3, first 2 shown]
	ds_read_b32 v5, v5
	s_waitcnt lgkmcnt(3)
	v_lshrrev_b32_e32 v0, 16, v15
	s_waitcnt lgkmcnt(2)
	v_lshrrev_b32_e32 v4, 16, v8
	;; [unrolled: 2-line block ×3, first 2 shown]
	v_lshrrev_b32_e32 v21, 16, v7
	v_lshrrev_b32_e32 v20, 16, v16
	;; [unrolled: 1-line block ×3, first 2 shown]
	s_waitcnt vmcnt(1)
	v_mul_f16_sdwa v22, v14, v4 dst_sel:DWORD dst_unused:UNUSED_PAD src0_sel:WORD_1 src1_sel:DWORD
	s_waitcnt vmcnt(0)
	v_mul_f16_sdwa v24, v11, v19 dst_sel:DWORD dst_unused:UNUSED_PAD src0_sel:WORD_1 src1_sel:DWORD
	v_mul_f16_sdwa v25, v13, v21 dst_sel:DWORD dst_unused:UNUSED_PAD src0_sel:WORD_1 src1_sel:DWORD
	;; [unrolled: 1-line block ×3, first 2 shown]
	v_fma_f16 v17, v11, v17, v24
	v_mul_f16_sdwa v24, v14, v8 dst_sel:DWORD dst_unused:UNUSED_PAD src0_sel:WORD_1 src1_sel:DWORD
	v_fma_f16 v8, v14, v8, v22
	v_fma_f16 v22, v13, v7, v25
	v_mul_f16_sdwa v25, v9, v0 dst_sel:DWORD dst_unused:UNUSED_PAD src0_sel:WORD_1 src1_sel:DWORD
	v_mul_f16_sdwa v27, v10, v20 dst_sel:DWORD dst_unused:UNUSED_PAD src0_sel:WORD_1 src1_sel:DWORD
	;; [unrolled: 1-line block ×4, first 2 shown]
	v_fma_f16 v25, v9, v15, v25
	v_fma_f16 v27, v10, v16, v27
	v_mul_f16_sdwa v15, v9, v15 dst_sel:DWORD dst_unused:UNUSED_PAD src0_sel:WORD_1 src1_sel:DWORD
	v_mul_f16_sdwa v16, v10, v16 dst_sel:DWORD dst_unused:UNUSED_PAD src0_sel:WORD_1 src1_sel:DWORD
	v_fma_f16 v23, v12, v18, v23
	v_mul_f16_sdwa v18, v12, v18 dst_sel:DWORD dst_unused:UNUSED_PAD src0_sel:WORD_1 src1_sel:DWORD
	v_fma_f16 v4, v14, v4, -v24
	v_fma_f16 v0, v9, v0, -v15
	;; [unrolled: 1-line block ×6, first 2 shown]
	v_sub_f16_e32 v11, v25, v8
	v_add_f16_e32 v14, v0, v4
	v_add_f16_e32 v16, v10, v7
	;; [unrolled: 1-line block ×4, first 2 shown]
	v_sub_f16_e32 v12, v23, v17
	v_sub_f16_e32 v13, v27, v22
	v_add_f16_e32 v15, v6, v9
	v_add_f16_e32 v17, v23, v17
	v_sub_f16_e32 v0, v0, v4
	v_sub_f16_e32 v4, v6, v9
	;; [unrolled: 1-line block ×3, first 2 shown]
	v_add_f16_e32 v20, v14, v16
	v_add_f16_e32 v23, v8, v18
	v_sub_f16_e32 v7, v11, v12
	v_sub_f16_e32 v9, v12, v13
	v_add_f16_e32 v10, v12, v13
	v_sub_f16_e32 v12, v14, v15
	v_sub_f16_e32 v19, v15, v16
	;; [unrolled: 1-line block ×6, first 2 shown]
	v_add_f16_e32 v4, v4, v6
	v_sub_f16_e32 v6, v6, v0
	v_add_f16_e32 v15, v15, v20
	v_add_f16_e32 v17, v17, v23
	v_sub_f16_e32 v13, v13, v11
	v_sub_f16_e32 v14, v16, v14
	;; [unrolled: 1-line block ×3, first 2 shown]
	v_mul_f16_e32 v9, 0x3846, v9
	v_mul_f16_e32 v16, 0x2b26, v19
	;; [unrolled: 1-line block ×5, first 2 shown]
	s_waitcnt lgkmcnt(0)
	v_add_f16_sdwa v23, v15, v5 dst_sel:DWORD dst_unused:UNUSED_PAD src0_sel:DWORD src1_sel:WORD_1
	v_add_f16_e32 v5, v17, v5
	v_mul_f16_e32 v26, 0xbb00, v6
	v_add_f16_e32 v10, v11, v10
	v_add_f16_e32 v0, v0, v4
	v_mul_f16_e32 v4, 0xbb00, v13
	v_fma_f16 v22, v7, s10, v9
	v_fma_f16 v25, v24, s10, v20
	;; [unrolled: 1-line block ×3, first 2 shown]
	v_fma_f16 v24, v24, s7, -v26
	v_fma_f16 v18, v8, s5, -v18
	;; [unrolled: 1-line block ×4, first 2 shown]
	v_mul_f16_e32 v11, 0x3a52, v12
	v_fma_f16 v4, v7, s7, -v4
	v_fma_f16 v7, v10, s6, v22
	v_fma_f16 v22, v0, s6, v25
	;; [unrolled: 1-line block ×3, first 2 shown]
	v_add_f16_e32 v8, v8, v17
	v_fma_f16 v0, v0, s6, v6
	v_fma_f16 v15, v15, s11, v23
	v_fma_f16 v11, v14, s5, -v11
	v_fma_f16 v14, v14, s0, -v16
	;; [unrolled: 1-line block ×3, first 2 shown]
	v_add_f16_e32 v6, v0, v8
	v_sub_f16_e32 v8, v8, v0
	v_lshlrev_b64 v[0:1], 2, v[1:2]
	v_fma_f16 v4, v10, s6, v4
	v_add_f16_e32 v11, v11, v15
	v_add_f16_e32 v14, v14, v15
	v_fma_f16 v9, v10, s6, v9
	v_fma_f16 v12, v12, s1, v16
	v_add_f16_e32 v16, v4, v11
	v_sub_f16_e32 v10, v14, v9
	v_add_f16_e32 v9, v9, v14
	v_sub_f16_e32 v11, v11, v4
	v_mov_b32_e32 v4, 0
	v_mov_b32_e32 v2, s3
	v_add_co_u32_e32 v14, vcc, s2, v0
	v_addc_co_u32_e32 v2, vcc, v2, v1, vcc
	v_lshlrev_b64 v[0:1], 2, v[3:4]
	v_fma_f16 v21, v21, s1, v19
	v_add_f16_e32 v12, v12, v15
	v_add_f16_e32 v21, v21, v17
	v_add_co_u32_e32 v0, vcc, v14, v0
	v_add_f16_e32 v25, v7, v12
	v_add_f16_e32 v18, v18, v17
	v_sub_f16_e32 v7, v12, v7
	v_add_f16_e32 v12, v22, v21
	v_addc_co_u32_e32 v1, vcc, v2, v1, vcc
	v_pack_b32_f16 v2, v5, v23
	v_add_f16_e32 v13, v24, v18
	global_store_dword v[0:1], v2, off
	v_pack_b32_f16 v2, v12, v7
	global_store_dword v[0:1], v2, off offset:280
	v_pack_b32_f16 v2, v13, v11
	global_store_dword v[0:1], v2, off offset:560
	v_pack_b32_f16 v2, v8, v9
	v_sub_f16_e32 v15, v18, v24
	global_store_dword v[0:1], v2, off offset:840
	v_pack_b32_f16 v2, v6, v10
	v_sub_f16_e32 v26, v21, v22
	global_store_dword v[0:1], v2, off offset:1120
	v_pack_b32_f16 v2, v15, v16
	global_store_dword v[0:1], v2, off offset:1400
	v_pack_b32_f16 v2, v26, v25
	global_store_dword v[0:1], v2, off offset:1680
.LBB0_16:
	s_endpgm
	.section	.rodata,"a",@progbits
	.p2align	6, 0x0
	.amdhsa_kernel fft_rtc_back_len490_factors_10_7_7_wgs_210_tpt_70_half_ip_CI_unitstride_sbrr_dirReg
		.amdhsa_group_segment_fixed_size 0
		.amdhsa_private_segment_fixed_size 0
		.amdhsa_kernarg_size 88
		.amdhsa_user_sgpr_count 6
		.amdhsa_user_sgpr_private_segment_buffer 1
		.amdhsa_user_sgpr_dispatch_ptr 0
		.amdhsa_user_sgpr_queue_ptr 0
		.amdhsa_user_sgpr_kernarg_segment_ptr 1
		.amdhsa_user_sgpr_dispatch_id 0
		.amdhsa_user_sgpr_flat_scratch_init 0
		.amdhsa_user_sgpr_private_segment_size 0
		.amdhsa_uses_dynamic_stack 0
		.amdhsa_system_sgpr_private_segment_wavefront_offset 0
		.amdhsa_system_sgpr_workgroup_id_x 1
		.amdhsa_system_sgpr_workgroup_id_y 0
		.amdhsa_system_sgpr_workgroup_id_z 0
		.amdhsa_system_sgpr_workgroup_info 0
		.amdhsa_system_vgpr_workitem_id 0
		.amdhsa_next_free_vgpr 31
		.amdhsa_next_free_sgpr 22
		.amdhsa_reserve_vcc 1
		.amdhsa_reserve_flat_scratch 0
		.amdhsa_float_round_mode_32 0
		.amdhsa_float_round_mode_16_64 0
		.amdhsa_float_denorm_mode_32 3
		.amdhsa_float_denorm_mode_16_64 3
		.amdhsa_dx10_clamp 1
		.amdhsa_ieee_mode 1
		.amdhsa_fp16_overflow 0
		.amdhsa_exception_fp_ieee_invalid_op 0
		.amdhsa_exception_fp_denorm_src 0
		.amdhsa_exception_fp_ieee_div_zero 0
		.amdhsa_exception_fp_ieee_overflow 0
		.amdhsa_exception_fp_ieee_underflow 0
		.amdhsa_exception_fp_ieee_inexact 0
		.amdhsa_exception_int_div_zero 0
	.end_amdhsa_kernel
	.text
.Lfunc_end0:
	.size	fft_rtc_back_len490_factors_10_7_7_wgs_210_tpt_70_half_ip_CI_unitstride_sbrr_dirReg, .Lfunc_end0-fft_rtc_back_len490_factors_10_7_7_wgs_210_tpt_70_half_ip_CI_unitstride_sbrr_dirReg
                                        ; -- End function
	.section	.AMDGPU.csdata,"",@progbits
; Kernel info:
; codeLenInByte = 4292
; NumSgprs: 26
; NumVgprs: 31
; ScratchSize: 0
; MemoryBound: 0
; FloatMode: 240
; IeeeMode: 1
; LDSByteSize: 0 bytes/workgroup (compile time only)
; SGPRBlocks: 3
; VGPRBlocks: 7
; NumSGPRsForWavesPerEU: 26
; NumVGPRsForWavesPerEU: 31
; Occupancy: 8
; WaveLimiterHint : 1
; COMPUTE_PGM_RSRC2:SCRATCH_EN: 0
; COMPUTE_PGM_RSRC2:USER_SGPR: 6
; COMPUTE_PGM_RSRC2:TRAP_HANDLER: 0
; COMPUTE_PGM_RSRC2:TGID_X_EN: 1
; COMPUTE_PGM_RSRC2:TGID_Y_EN: 0
; COMPUTE_PGM_RSRC2:TGID_Z_EN: 0
; COMPUTE_PGM_RSRC2:TIDIG_COMP_CNT: 0
	.type	__hip_cuid_16e8dd9ef5101121,@object ; @__hip_cuid_16e8dd9ef5101121
	.section	.bss,"aw",@nobits
	.globl	__hip_cuid_16e8dd9ef5101121
__hip_cuid_16e8dd9ef5101121:
	.byte	0                               ; 0x0
	.size	__hip_cuid_16e8dd9ef5101121, 1

	.ident	"AMD clang version 19.0.0git (https://github.com/RadeonOpenCompute/llvm-project roc-6.4.0 25133 c7fe45cf4b819c5991fe208aaa96edf142730f1d)"
	.section	".note.GNU-stack","",@progbits
	.addrsig
	.addrsig_sym __hip_cuid_16e8dd9ef5101121
	.amdgpu_metadata
---
amdhsa.kernels:
  - .args:
      - .actual_access:  read_only
        .address_space:  global
        .offset:         0
        .size:           8
        .value_kind:     global_buffer
      - .offset:         8
        .size:           8
        .value_kind:     by_value
      - .actual_access:  read_only
        .address_space:  global
        .offset:         16
        .size:           8
        .value_kind:     global_buffer
      - .actual_access:  read_only
        .address_space:  global
        .offset:         24
        .size:           8
        .value_kind:     global_buffer
      - .offset:         32
        .size:           8
        .value_kind:     by_value
      - .actual_access:  read_only
        .address_space:  global
        .offset:         40
        .size:           8
        .value_kind:     global_buffer
      - .actual_access:  read_only
        .address_space:  global
        .offset:         48
        .size:           8
        .value_kind:     global_buffer
      - .offset:         56
        .size:           4
        .value_kind:     by_value
      - .actual_access:  read_only
        .address_space:  global
        .offset:         64
        .size:           8
        .value_kind:     global_buffer
      - .actual_access:  read_only
        .address_space:  global
        .offset:         72
        .size:           8
        .value_kind:     global_buffer
      - .address_space:  global
        .offset:         80
        .size:           8
        .value_kind:     global_buffer
    .group_segment_fixed_size: 0
    .kernarg_segment_align: 8
    .kernarg_segment_size: 88
    .language:       OpenCL C
    .language_version:
      - 2
      - 0
    .max_flat_workgroup_size: 210
    .name:           fft_rtc_back_len490_factors_10_7_7_wgs_210_tpt_70_half_ip_CI_unitstride_sbrr_dirReg
    .private_segment_fixed_size: 0
    .sgpr_count:     26
    .sgpr_spill_count: 0
    .symbol:         fft_rtc_back_len490_factors_10_7_7_wgs_210_tpt_70_half_ip_CI_unitstride_sbrr_dirReg.kd
    .uniform_work_group_size: 1
    .uses_dynamic_stack: false
    .vgpr_count:     31
    .vgpr_spill_count: 0
    .wavefront_size: 64
amdhsa.target:   amdgcn-amd-amdhsa--gfx906
amdhsa.version:
  - 1
  - 2
...

	.end_amdgpu_metadata
